;; amdgpu-corpus repo=ROCm/bitsandbytes kind=harvested arch=n/a opt=n/a
	.text
	.amdgcn_target "amdgcn-amd-amdhsa--gfx1100"
	.amdhsa_code_object_version 6
	.protected	_Z26kOptimizerStatic8bit1StateI6__halfLi2EEvPT_S2_PhPKffffffifPfS6_S6_ffi ; -- Begin function _Z26kOptimizerStatic8bit1StateI6__halfLi2EEvPT_S2_PhPKffffffifPfS6_S6_ffi
	.globl	_Z26kOptimizerStatic8bit1StateI6__halfLi2EEvPT_S2_PhPKffffffifPfS6_S6_ffi
	.p2align	8
	.type	_Z26kOptimizerStatic8bit1StateI6__halfLi2EEvPT_S2_PhPKffffffifPfS6_S6_ffi,@function
_Z26kOptimizerStatic8bit1StateI6__halfLi2EEvPT_S2_PhPKffffffifPfS6_S6_ffi: ; @_Z26kOptimizerStatic8bit1StateI6__halfLi2EEvPT_S2_PhPKffffffifPfS6_S6_ffi
; %bb.0:
	s_clause 0x1
	s_load_b32 s2, s[0:1], 0x68
	s_load_b32 s3, s[0:1], 0x74
	v_lshlrev_b32_e32 v1, 2, v0
	s_mov_b32 s4, exec_lo
	v_cmpx_gt_u32_e32 0x100, v0
	s_cbranch_execz .LBB84_2
; %bb.1:
	s_load_b64 s[6:7], s[0:1], 0x40
	s_waitcnt lgkmcnt(0)
	global_load_b32 v2, v1, s[6:7]
	s_waitcnt vmcnt(0)
	ds_store_b32 v1, v2 offset:8448
.LBB84_2:
	s_or_b32 exec_lo, exec_lo, s4
	s_waitcnt lgkmcnt(0)
	s_and_b32 s3, 0xffff, s3
	s_delay_alu instid0(SALU_CYCLE_1)
	s_mul_i32 s4, s2, s3
	s_mul_i32 s15, s15, s3
	s_lshl_b32 s9, s4, 2
	s_lshl_b32 s10, s15, 2
	s_barrier
	s_cmp_ge_u32 s10, s9
	buffer_gl0_inv
	s_cbranch_scc1 .LBB84_111
; %bb.3:
	s_load_b256 s[12:19], s[0:1], 0x48
	v_mbcnt_lo_u32_b32 v2, -1, 0
	v_dual_mov_b32 v11, 0 :: v_dual_add_nc_u32 v10, 4, v1
	s_mov_b32 s11, 0
                                        ; implicit-def: $vgpr35
                                        ; implicit-def: $vgpr36
	s_waitcnt lgkmcnt(0)
	s_load_b32 s3, s[14:15], 0x0
	s_clause 0x1
	s_load_b128 s[4:7], s[0:1], 0x0
	s_load_b64 s[20:21], s[0:1], 0x10
	v_and_or_b32 v0, 0x3e0, v0, v2
	s_clause 0x2
	s_load_b32 s14, s[0:1], 0x28
	s_load_b32 s15, s[0:1], 0x30
	;; [unrolled: 1-line block ×3, first 2 shown]
	v_mov_b32_e32 v34, 0xff
	v_lshlrev_b32_e32 v6, 2, v0
	v_bfe_u32 v0, v0, 3, 27
	s_delay_alu instid0(VALU_DEP_1) | instskip(SKIP_1) | instid1(VALU_DEP_2)
	v_and_b32_e32 v21, 0x7e, v0
	v_and_b32_e32 v0, 0x7c, v0
	v_add_lshl_u32 v21, v21, v6, 1
	s_waitcnt lgkmcnt(0)
	v_div_scale_f32 v7, null, s3, s3, 1.0
	v_div_scale_f32 v29, vcc_lo, 1.0, s3, 1.0
	v_sub_f32_e64 v23, 1.0, s14
	s_delay_alu instid0(VALU_DEP_3) | instskip(SKIP_2) | instid1(VALU_DEP_1)
	v_rcp_f32_e32 v8, v7
	s_waitcnt_depctr 0xfff
	v_fma_f32 v22, -v7, v8, 1.0
	v_dual_fmac_f32 v8, v22, v8 :: v_dual_and_b32 v3, 0xf80, v1
	s_delay_alu instid0(VALU_DEP_1)
	v_or_b32_e32 v12, v2, v3
	v_lshlrev_b32_e32 v1, 1, v2
	v_lshrrev_b32_e32 v5, 5, v3
	v_add_nc_u32_e32 v22, v0, v6
	v_mul_f32_e32 v0, v29, v8
	v_or_b32_e32 v13, 32, v12
	v_lshlrev_b32_e32 v4, 1, v3
	v_add_co_u32 v24, s0, s6, v1
	s_delay_alu instid0(VALU_DEP_4) | instskip(NEXT) | instid1(VALU_DEP_4)
	v_fma_f32 v27, -v7, v0, v29
	v_add_nc_u32_e32 v18, v5, v13
	v_add_co_ci_u32_e64 v25, null, s7, 0, s0
	v_or_b32_e32 v14, 64, v12
	v_or_b32_e32 v15, 0x60, v12
	s_delay_alu instid0(VALU_DEP_4) | instskip(SKIP_2) | instid1(VALU_DEP_1)
	v_dual_fmac_f32 v0, v27, v8 :: v_dual_lshlrev_b32 v19, 1, v18
	v_add_co_u32 v2, s0, s20, v2
	v_add_co_u32 v24, s1, v24, v4
	v_add_co_ci_u32_e64 v25, s1, 0, v25, s1
	v_add_nc_u32_e32 v16, v5, v12
	v_lshrrev_b32_e32 v5, 5, v14
	v_lshrrev_b32_e32 v9, 5, v15
	v_add_co_u32 v27, s1, v2, v3
	v_fma_f32 v2, -v7, v0, v29
	v_add_co_ci_u32_e64 v28, null, s21, 0, s0
	v_add_co_u32 v1, s0, s4, v1
	v_add_lshl_u32 v20, v5, v14, 1
	v_and_b32_e32 v26, 0x7e, v9
	v_and_b32_e32 v5, 0x7c, v5
	;; [unrolled: 1-line block ×3, first 2 shown]
	v_add_co_ci_u32_e64 v6, null, s5, 0, s0
	v_div_fmas_f32 v0, v2, v8, v0
	v_add_co_u32 v31, vcc_lo, v1, v4
	v_lshlrev_b32_e32 v17, 1, v16
	v_cmp_gt_f32_e64 s0, s16, 0
	v_add_lshl_u32 v26, v26, v15, 1
	v_add_co_ci_u32_e64 v28, s1, 0, v28, s1
	v_add_nc_u32_e32 v29, v5, v14
	v_add_nc_u32_e32 v30, v9, v15
	v_add_co_ci_u32_e32 v32, vcc_lo, 0, v6, vcc_lo
	v_div_fixup_f32 v33, v0, s3, 1.0
	s_lshl_b32 s20, s2, 12
	s_sub_i32 s21, s18, s10
                                        ; implicit-def: $vgpr1
	s_branch .LBB84_6
.LBB84_4:                               ;   in Loop: Header=BB84_6 Depth=1
	s_or_b32 exec_lo, exec_lo, s1
	s_waitcnt lgkmcnt(0)
	s_waitcnt_vscnt null, 0x0
	s_barrier
	buffer_gl0_inv
.LBB84_5:                               ;   in Loop: Header=BB84_6 Depth=1
	s_or_b32 exec_lo, exec_lo, s22
	s_add_i32 s10, s10, s20
	s_sub_i32 s21, s21, s20
	s_cmp_ge_u32 s10, s9
	s_cbranch_scc1 .LBB84_111
.LBB84_6:                               ; =>This Inner Loop Header: Depth=1
	s_lshl_b64 s[6:7], s[10:11], 1
	s_min_u32 s4, s21, 0x1000
	v_add_co_u32 v2, vcc_lo, v24, s6
	v_add_co_ci_u32_e32 v3, vcc_lo, s7, v25, vcc_lo
	v_cmp_gt_u32_e64 s1, s4, v12
	v_mov_b32_e32 v4, 0
	s_delay_alu instid0(VALU_DEP_2)
	s_and_saveexec_b32 s2, s1
	s_cbranch_execz .LBB84_8
; %bb.7:                                ;   in Loop: Header=BB84_6 Depth=1
	global_load_u16 v4, v[2:3], off
.LBB84_8:                               ;   in Loop: Header=BB84_6 Depth=1
	s_or_b32 exec_lo, exec_lo, s2
	v_cmp_gt_u32_e64 s2, s4, v13
	v_dual_mov_b32 v5, 0 :: v_dual_mov_b32 v6, 0
	s_delay_alu instid0(VALU_DEP_2)
	s_and_saveexec_b32 s3, s2
	s_cbranch_execz .LBB84_10
; %bb.9:                                ;   in Loop: Header=BB84_6 Depth=1
	global_load_u16 v6, v[2:3], off offset:64
.LBB84_10:                              ;   in Loop: Header=BB84_6 Depth=1
	s_or_b32 exec_lo, exec_lo, s3
	v_cmp_gt_u32_e64 s3, s4, v14
	s_delay_alu instid0(VALU_DEP_1)
	s_and_saveexec_b32 s5, s3
	s_cbranch_execz .LBB84_12
; %bb.11:                               ;   in Loop: Header=BB84_6 Depth=1
	global_load_u16 v5, v[2:3], off offset:128
.LBB84_12:                              ;   in Loop: Header=BB84_6 Depth=1
	s_or_b32 exec_lo, exec_lo, s5
	v_cmp_gt_u32_e64 s4, s4, v15
	v_mov_b32_e32 v7, 0
	s_delay_alu instid0(VALU_DEP_2)
	s_and_saveexec_b32 s5, s4
	s_cbranch_execz .LBB84_14
; %bb.13:                               ;   in Loop: Header=BB84_6 Depth=1
	global_load_u16 v7, v[2:3], off offset:192
.LBB84_14:                              ;   in Loop: Header=BB84_6 Depth=1
	s_or_b32 exec_lo, exec_lo, s5
	s_waitcnt vmcnt(0)
	ds_store_b16 v17, v4
	ds_store_b16 v19, v6
	;; [unrolled: 1-line block ×4, first 2 shown]
	; wave barrier
	ds_load_b64 v[6:7], v21
	v_add_co_u32 v2, vcc_lo, v27, s10
	v_add_co_ci_u32_e32 v3, vcc_lo, 0, v28, vcc_lo
	v_dual_mov_b32 v4, 0x80 :: v_dual_mov_b32 v5, 0x80
	v_mov_b32_e32 v8, 0x80
	s_waitcnt lgkmcnt(0)
	s_barrier
	buffer_gl0_inv
	s_and_saveexec_b32 s5, s1
	s_cbranch_execnz .LBB84_98
; %bb.15:                               ;   in Loop: Header=BB84_6 Depth=1
	s_or_b32 exec_lo, exec_lo, s5
	v_mov_b32_e32 v9, v4
	s_and_saveexec_b32 s5, s2
	s_cbranch_execnz .LBB84_99
.LBB84_16:                              ;   in Loop: Header=BB84_6 Depth=1
	s_or_b32 exec_lo, exec_lo, s5
	s_and_saveexec_b32 s5, s3
	s_cbranch_execnz .LBB84_100
.LBB84_17:                              ;   in Loop: Header=BB84_6 Depth=1
	s_or_b32 exec_lo, exec_lo, s5
	s_and_saveexec_b32 s5, s4
	s_cbranch_execz .LBB84_19
.LBB84_18:                              ;   in Loop: Header=BB84_6 Depth=1
	global_load_u8 v8, v[2:3], off offset:96
.LBB84_19:                              ;   in Loop: Header=BB84_6 Depth=1
	s_or_b32 exec_lo, exec_lo, s5
	s_waitcnt vmcnt(0)
	ds_store_b8 v16, v5
	ds_store_b8 v18, v9
	;; [unrolled: 1-line block ×4, first 2 shown]
	; wave barrier
	ds_load_u8 v8, v22
	ds_load_u8 v42, v22 offset:1
	ds_load_u8 v40, v22 offset:2
	;; [unrolled: 1-line block ×3, first 2 shown]
	v_add_co_u32 v4, vcc_lo, v31, s6
	v_add_co_ci_u32_e32 v5, vcc_lo, s7, v32, vcc_lo
	s_waitcnt lgkmcnt(0)
	s_barrier
	buffer_gl0_inv
	s_and_saveexec_b32 s5, s1
	s_cbranch_execnz .LBB84_101
; %bb.20:                               ;   in Loop: Header=BB84_6 Depth=1
	s_or_b32 exec_lo, exec_lo, s5
	s_and_saveexec_b32 s5, s2
	s_cbranch_execnz .LBB84_102
.LBB84_21:                              ;   in Loop: Header=BB84_6 Depth=1
	s_or_b32 exec_lo, exec_lo, s5
	s_and_saveexec_b32 s5, s3
	s_cbranch_execnz .LBB84_103
.LBB84_22:                              ;   in Loop: Header=BB84_6 Depth=1
	s_or_b32 exec_lo, exec_lo, s5
	s_and_saveexec_b32 s5, s4
	s_cbranch_execz .LBB84_24
.LBB84_23:                              ;   in Loop: Header=BB84_6 Depth=1
	global_load_u16 v35, v[4:5], off offset:192
.LBB84_24:                              ;   in Loop: Header=BB84_6 Depth=1
	s_or_b32 exec_lo, exec_lo, s5
	s_waitcnt vmcnt(0)
	ds_store_b16 v17, v0
	ds_store_b16 v19, v36
	;; [unrolled: 1-line block ×4, first 2 shown]
	; wave barrier
	ds_load_b64 v[0:1], v21
	v_add_nc_u32_e32 v9, s10, v10
	s_mov_b32 s22, exec_lo
	s_waitcnt lgkmcnt(0)
	v_lshrrev_b32_e32 v36, 16, v0
	v_lshrrev_b32_e32 v35, 16, v1
	v_cmpx_ge_u32_e64 s18, v9
	s_cbranch_execz .LBB84_5
; %bb.25:                               ;   in Loop: Header=BB84_6 Depth=1
	global_load_b32 v41, v11, s[12:13]
	v_dual_mov_b32 v49, -16 :: v_dual_and_b32 v8, 0xff, v8
	s_mov_b32 s7, exec_lo
	s_delay_alu instid0(VALU_DEP_1) | instskip(SKIP_2) | instid1(VALU_DEP_1)
	v_lshlrev_b32_e32 v8, 2, v8
	ds_load_b32 v38, v8 offset:8448
	v_cvt_f32_f16_e32 v8, v6
	v_mul_f32_e32 v37, s17, v8
	v_add_nc_u32_e64 v8, 0x2000, 0
	ds_load_b32 v39, v11 offset:9468
	ds_load_2addr_b32 v[8:9], v8 offset0:64 offset1:191
	s_waitcnt vmcnt(0) lgkmcnt(2)
	v_mul_f32_e32 v38, v38, v41
	v_fma_mix_f32 v44, v0, s16, v37 op_sel_hi:[1,0,0]
	s_delay_alu instid0(VALU_DEP_2) | instskip(NEXT) | instid1(VALU_DEP_2)
	v_mul_f32_e32 v38, s14, v38
	v_cndmask_b32_e64 v37, v37, v44, s0
	s_delay_alu instid0(VALU_DEP_1) | instskip(NEXT) | instid1(VALU_DEP_1)
	v_mul_f32_e32 v44, v37, v37
	v_fmac_f32_e32 v38, v23, v44
	s_delay_alu instid0(VALU_DEP_1) | instskip(SKIP_1) | instid1(VALU_DEP_1)
	v_mul_f32_e32 v44, v33, v38
	s_waitcnt lgkmcnt(0)
	v_cmp_lt_f32_e32 vcc_lo, v9, v44
	v_cndmask_b32_e64 v51, 63, 0xbf, vcc_lo
	v_cndmask_b32_e64 v46, 0, 0x7f, vcc_lo
	s_delay_alu instid0(VALU_DEP_2) | instskip(SKIP_4) | instid1(VALU_DEP_1)
	v_dual_cndmask_b32 v52, -1.0, v9 :: v_dual_lshlrev_b32 v45, 2, v51
	ds_load_b32 v53, v45 offset:8448
	v_or_b32_e32 v45, 0x2100, v45
	s_waitcnt lgkmcnt(0)
	v_cmp_lt_f32_e64 s5, v53, v44
	v_cndmask_b32_e64 v47, 0xffffffe0, 32, s5
	v_cndmask_b32_e64 v50, v46, v51, s5
	;; [unrolled: 1-line block ×3, first 2 shown]
	s_delay_alu instid0(VALU_DEP_3)
	v_lshl_add_u32 v48, v47, 2, v45
	v_add_nc_u32_e32 v47, v51, v47
	ds_load_b32 v45, v48
	v_mov_b32_e32 v46, v47
	s_waitcnt lgkmcnt(0)
	v_cmpx_lt_f32_e32 v45, v44
; %bb.26:                               ;   in Loop: Header=BB84_6 Depth=1
	v_cndmask_b32_e64 v46, v9, 1.0, vcc_lo
	v_dual_cndmask_b32 v49, 0x7f, v34 :: v_dual_mov_b32 v50, v47
	v_mov_b32_e32 v52, v45
	s_delay_alu instid0(VALU_DEP_3) | instskip(NEXT) | instid1(VALU_DEP_3)
	v_cndmask_b32_e64 v53, v53, v46, s5
	v_cndmask_b32_e64 v46, v51, v49, s5
	v_mov_b32_e32 v49, 16
	s_delay_alu instid0(VALU_DEP_3)
	v_mov_b32_e32 v45, v53
; %bb.27:                               ;   in Loop: Header=BB84_6 Depth=1
	s_or_b32 exec_lo, exec_lo, s7
	s_delay_alu instid0(VALU_DEP_2)
	v_lshl_add_u32 v48, v49, 2, v48
	v_add_nc_u32_e32 v56, v49, v47
	s_mov_b32 s6, exec_lo
	ds_load_b32 v55, v48
	s_waitcnt lgkmcnt(0)
	v_cmp_lt_f32_e32 vcc_lo, v55, v44
	v_cndmask_b32_e64 v53, -8, 8, vcc_lo
	v_cndmask_b32_e32 v54, v52, v55, vcc_lo
	s_delay_alu instid0(VALU_DEP_2)
	v_lshl_add_u32 v51, v53, 2, v48
	v_add_nc_u32_e32 v47, v53, v56
	v_dual_mov_b32 v53, -4 :: v_dual_cndmask_b32 v50, v50, v56
	ds_load_b32 v48, v51
	v_mov_b32_e32 v49, v47
	s_waitcnt lgkmcnt(0)
	v_cmpx_lt_f32_e32 v48, v44
; %bb.28:                               ;   in Loop: Header=BB84_6 Depth=1
	v_dual_cndmask_b32 v45, v55, v45 :: v_dual_mov_b32 v54, v48
	v_dual_cndmask_b32 v49, v56, v46 :: v_dual_mov_b32 v50, v47
	s_delay_alu instid0(VALU_DEP_2)
	v_dual_mov_b32 v53, 4 :: v_dual_mov_b32 v48, v45
; %bb.29:                               ;   in Loop: Header=BB84_6 Depth=1
	s_or_b32 exec_lo, exec_lo, s6
	s_delay_alu instid0(VALU_DEP_1)
	v_lshl_add_u32 v45, v53, 2, v51
	v_dual_mov_b32 v53, -1 :: v_dual_add_nc_u32 v56, v53, v47
	s_mov_b32 s6, exec_lo
	ds_load_b32 v55, v45
	s_waitcnt lgkmcnt(0)
	v_cmp_lt_f32_e32 vcc_lo, v55, v44
	v_cndmask_b32_e64 v51, -2, 2, vcc_lo
	s_delay_alu instid0(VALU_DEP_1)
	v_lshl_add_u32 v45, v51, 2, v45
	v_dual_cndmask_b32 v51, v54, v55 :: v_dual_add_nc_u32 v52, v51, v56
	v_cndmask_b32_e32 v50, v50, v56, vcc_lo
	ds_load_b32 v46, v45
	v_mov_b32_e32 v47, v52
	s_waitcnt lgkmcnt(0)
	v_cmpx_lt_f32_e32 v46, v44
; %bb.30:                               ;   in Loop: Header=BB84_6 Depth=1
	v_dual_cndmask_b32 v48, v55, v48 :: v_dual_cndmask_b32 v47, v56, v49
	v_dual_mov_b32 v53, 1 :: v_dual_mov_b32 v50, v52
	s_delay_alu instid0(VALU_DEP_2)
	v_dual_mov_b32 v51, v46 :: v_dual_mov_b32 v46, v48
; %bb.31:                               ;   in Loop: Header=BB84_6 Depth=1
	s_or_b32 exec_lo, exec_lo, s6
	s_delay_alu instid0(VALU_DEP_2)
	v_lshl_add_u32 v45, v53, 2, v45
	v_add_nc_u32_e32 v48, v53, v52
	s_mov_b32 s5, exec_lo
	ds_load_b32 v49, v45
                                        ; implicit-def: $vgpr45
	s_waitcnt lgkmcnt(0)
	v_cmpx_nlt_f32_e32 v49, v44
	s_xor_b32 s5, exec_lo, s5
; %bb.32:                               ;   in Loop: Header=BB84_6 Depth=1
	v_cmp_eq_u32_e32 vcc_lo, 0, v50
                                        ; implicit-def: $vgpr47
                                        ; implicit-def: $vgpr46
	v_cndmask_b32_e32 v45, v51, v8, vcc_lo
	s_delay_alu instid0(VALU_DEP_1) | instskip(NEXT) | instid1(VALU_DEP_1)
	v_add_f32_e32 v45, v49, v45
                                        ; implicit-def: $vgpr49
	v_mul_f32_e32 v45, 0.5, v45
	s_delay_alu instid0(VALU_DEP_1)
	v_cmp_gt_f32_e32 vcc_lo, v45, v44
                                        ; implicit-def: $vgpr44
	v_cndmask_b32_e32 v45, v48, v50, vcc_lo
                                        ; implicit-def: $vgpr48
; %bb.33:                               ;   in Loop: Header=BB84_6 Depth=1
	s_and_not1_saveexec_b32 s5, s5
; %bb.34:                               ;   in Loop: Header=BB84_6 Depth=1
	v_cmp_eq_u32_e32 vcc_lo, 0xff, v47
	v_cndmask_b32_e32 v45, v46, v39, vcc_lo
	s_delay_alu instid0(VALU_DEP_1) | instskip(NEXT) | instid1(VALU_DEP_1)
	v_add_f32_e32 v45, v49, v45
	v_mul_f32_e32 v45, 0.5, v45
	s_delay_alu instid0(VALU_DEP_1)
	v_cmp_lt_f32_e32 vcc_lo, v45, v44
	v_cndmask_b32_e32 v45, v48, v47, vcc_lo
; %bb.35:                               ;   in Loop: Header=BB84_6 Depth=1
	s_or_b32 exec_lo, exec_lo, s5
	s_delay_alu instid0(VALU_DEP_1)
	v_lshlrev_b32_e32 v44, 2, v45
	v_lshlrev_b16 v42, 8, v42
	v_and_b32_e32 v46, 0xff, v45
	v_lshlrev_b16 v43, 8, v43
	v_and_b32_e32 v40, 0xff, v40
	ds_load_b32 v44, v44 offset:8448
	s_mov_b32 s5, exec_lo
	v_or_b32_e32 v42, v46, v42
	v_or_b32_e32 v40, v40, v43
	s_delay_alu instid0(VALU_DEP_2) | instskip(NEXT) | instid1(VALU_DEP_2)
	v_and_b32_e32 v42, 0xffff, v42
	v_lshlrev_b32_e32 v40, 16, v40
	s_delay_alu instid0(VALU_DEP_1) | instskip(SKIP_2) | instid1(VALU_DEP_1)
	v_or_b32_e32 v42, v42, v40
	s_waitcnt lgkmcnt(0)
	v_xor_b32_e32 v43, v44, v38
	v_cmpx_gt_i32_e32 0, v43
	s_cbranch_execz .LBB84_41
; %bb.36:                               ;   in Loop: Header=BB84_6 Depth=1
	s_mov_b32 s6, exec_lo
	v_cmpx_nlt_f32_e32 0, v38
	s_xor_b32 s6, exec_lo, s6
; %bb.37:                               ;   in Loop: Header=BB84_6 Depth=1
	v_add_nc_u16 v40, v45, -1
                                        ; implicit-def: $vgpr45
	s_delay_alu instid0(VALU_DEP_1)
	v_perm_b32 v42, v40, v42, 0x3020104
; %bb.38:                               ;   in Loop: Header=BB84_6 Depth=1
	s_and_not1_saveexec_b32 s6, s6
; %bb.39:                               ;   in Loop: Header=BB84_6 Depth=1
	v_add_nc_u16 v40, v45, 1
	s_delay_alu instid0(VALU_DEP_1)
	v_perm_b32 v42, v40, v42, 0x3020104
; %bb.40:                               ;   in Loop: Header=BB84_6 Depth=1
	s_or_b32 exec_lo, exec_lo, s6
.LBB84_41:                              ;   in Loop: Header=BB84_6 Depth=1
	s_delay_alu instid0(SALU_CYCLE_1) | instskip(SKIP_1) | instid1(VALU_DEP_2)
	s_or_b32 exec_lo, exec_lo, s5
	v_lshrrev_b32_e32 v6, 16, v6
	v_lshrrev_b32_e32 v40, 6, v42
	v_mov_b32_e32 v48, -16
	s_mov_b32 s7, exec_lo
	s_delay_alu instid0(VALU_DEP_3) | instskip(NEXT) | instid1(VALU_DEP_1)
	v_cvt_f32_f16_e32 v6, v6
	v_mul_f32_e32 v6, s17, v6
	s_delay_alu instid0(VALU_DEP_1) | instskip(NEXT) | instid1(VALU_DEP_1)
	v_fma_mix_f32 v43, v36, s16, v6 op_sel_hi:[1,0,0]
	v_cndmask_b32_e64 v6, v6, v43, s0
	s_delay_alu instid0(VALU_DEP_1) | instskip(SKIP_3) | instid1(VALU_DEP_1)
	v_dual_mul_f32 v43, v6, v6 :: v_dual_and_b32 v40, 0x3fc, v40
	ds_load_b32 v40, v40 offset:8448
	s_waitcnt lgkmcnt(0)
	v_mul_f32_e32 v40, v40, v41
	v_mul_f32_e32 v40, s14, v40
	s_delay_alu instid0(VALU_DEP_1) | instskip(NEXT) | instid1(VALU_DEP_1)
	v_fmac_f32_e32 v40, v23, v43
	v_mul_f32_e32 v43, v33, v40
	s_delay_alu instid0(VALU_DEP_1) | instskip(SKIP_3) | instid1(VALU_DEP_3)
	v_cmp_lt_f32_e32 vcc_lo, v9, v43
	v_cndmask_b32_e64 v49, 63, 0xbf, vcc_lo
	v_cndmask_b32_e64 v45, 0, 0x7f, vcc_lo
	v_cndmask_b32_e32 v52, -1.0, v9, vcc_lo
	v_lshlrev_b32_e32 v44, 2, v49
	ds_load_b32 v51, v44 offset:8448
	v_or_b32_e32 v44, 0x2100, v44
	s_waitcnt lgkmcnt(0)
	v_cmp_lt_f32_e64 s5, v51, v43
	s_delay_alu instid0(VALU_DEP_1) | instskip(SKIP_2) | instid1(VALU_DEP_3)
	v_cndmask_b32_e64 v47, 0xffffffe0, 32, s5
	v_cndmask_b32_e64 v50, v45, v49, s5
	;; [unrolled: 1-line block ×3, first 2 shown]
	v_lshl_add_u32 v46, v47, 2, v44
	v_add_nc_u32_e32 v47, v49, v47
	ds_load_b32 v44, v46
	v_mov_b32_e32 v45, v47
	s_waitcnt lgkmcnt(0)
	v_cmpx_lt_f32_e32 v44, v43
; %bb.42:                               ;   in Loop: Header=BB84_6 Depth=1
	v_cndmask_b32_e64 v45, v9, 1.0, vcc_lo
	v_dual_cndmask_b32 v48, 0x7f, v34 :: v_dual_mov_b32 v53, v44
	v_mov_b32_e32 v50, v47
	s_delay_alu instid0(VALU_DEP_3) | instskip(NEXT) | instid1(VALU_DEP_3)
	v_cndmask_b32_e64 v51, v51, v45, s5
	v_cndmask_b32_e64 v45, v49, v48, s5
	v_mov_b32_e32 v48, 16
	s_delay_alu instid0(VALU_DEP_3)
	v_mov_b32_e32 v44, v51
; %bb.43:                               ;   in Loop: Header=BB84_6 Depth=1
	s_or_b32 exec_lo, exec_lo, s7
	s_delay_alu instid0(VALU_DEP_2)
	v_lshl_add_u32 v46, v48, 2, v46
	v_add_nc_u32_e32 v55, v48, v47
	s_mov_b32 s6, exec_lo
	ds_load_b32 v54, v46
	s_waitcnt lgkmcnt(0)
	v_cmp_lt_f32_e32 vcc_lo, v54, v43
	v_cndmask_b32_e64 v51, -8, 8, vcc_lo
	v_dual_cndmask_b32 v52, v50, v55 :: v_dual_cndmask_b32 v53, v53, v54
	s_delay_alu instid0(VALU_DEP_2)
	v_lshl_add_u32 v49, v51, 2, v46
	v_dual_mov_b32 v51, -4 :: v_dual_add_nc_u32 v48, v51, v55
	ds_load_b32 v46, v49
	v_mov_b32_e32 v47, v48
	s_waitcnt lgkmcnt(0)
	v_cmpx_lt_f32_e32 v46, v43
; %bb.44:                               ;   in Loop: Header=BB84_6 Depth=1
	v_dual_cndmask_b32 v44, v54, v44 :: v_dual_cndmask_b32 v47, v55, v45
	v_dual_mov_b32 v51, 4 :: v_dual_mov_b32 v52, v48
	s_delay_alu instid0(VALU_DEP_2)
	v_dual_mov_b32 v53, v46 :: v_dual_mov_b32 v46, v44
; %bb.45:                               ;   in Loop: Header=BB84_6 Depth=1
	s_or_b32 exec_lo, exec_lo, s6
	s_delay_alu instid0(VALU_DEP_2)
	v_lshl_add_u32 v44, v51, 2, v49
	s_mov_b32 s6, exec_lo
	v_mov_b32_e32 v54, -1
	ds_load_b32 v55, v44
	s_waitcnt lgkmcnt(0)
	v_cmp_lt_f32_e32 vcc_lo, v55, v43
	v_dual_cndmask_b32 v49, v53, v55 :: v_dual_add_nc_u32 v56, v51, v48
	v_cndmask_b32_e64 v45, -2, 2, vcc_lo
	s_delay_alu instid0(VALU_DEP_1) | instskip(NEXT) | instid1(VALU_DEP_3)
	v_lshl_add_u32 v50, v45, 2, v44
	v_add_nc_u32_e32 v51, v45, v56
	v_cndmask_b32_e32 v48, v52, v56, vcc_lo
	ds_load_b32 v44, v50
	v_mov_b32_e32 v45, v51
	s_waitcnt lgkmcnt(0)
	v_cmpx_lt_f32_e32 v44, v43
; %bb.46:                               ;   in Loop: Header=BB84_6 Depth=1
	v_dual_cndmask_b32 v46, v55, v46 :: v_dual_cndmask_b32 v45, v56, v47
	v_dual_mov_b32 v54, 1 :: v_dual_mov_b32 v49, v44
	v_mov_b32_e32 v48, v51
	s_delay_alu instid0(VALU_DEP_3)
	v_mov_b32_e32 v44, v46
; %bb.47:                               ;   in Loop: Header=BB84_6 Depth=1
	s_or_b32 exec_lo, exec_lo, s6
	s_delay_alu instid0(VALU_DEP_3)
	v_lshl_add_u32 v46, v54, 2, v50
	v_add_nc_u32_e32 v47, v54, v51
	s_mov_b32 s5, exec_lo
	ds_load_b32 v50, v46
                                        ; implicit-def: $vgpr46
	s_waitcnt lgkmcnt(0)
	v_cmpx_nlt_f32_e32 v50, v43
	s_xor_b32 s5, exec_lo, s5
; %bb.48:                               ;   in Loop: Header=BB84_6 Depth=1
	v_cmp_eq_u32_e32 vcc_lo, 0, v48
                                        ; implicit-def: $vgpr45
	v_cndmask_b32_e32 v44, v49, v8, vcc_lo
	s_delay_alu instid0(VALU_DEP_1) | instskip(NEXT) | instid1(VALU_DEP_1)
	v_add_f32_e32 v44, v50, v44
                                        ; implicit-def: $vgpr50
	v_mul_f32_e32 v44, 0.5, v44
	s_delay_alu instid0(VALU_DEP_1)
	v_cmp_gt_f32_e32 vcc_lo, v44, v43
                                        ; implicit-def: $vgpr44
                                        ; implicit-def: $vgpr43
	v_cndmask_b32_e32 v46, v47, v48, vcc_lo
                                        ; implicit-def: $vgpr47
; %bb.49:                               ;   in Loop: Header=BB84_6 Depth=1
	s_and_not1_saveexec_b32 s5, s5
; %bb.50:                               ;   in Loop: Header=BB84_6 Depth=1
	v_cmp_eq_u32_e32 vcc_lo, 0xff, v45
	v_cndmask_b32_e32 v44, v44, v39, vcc_lo
	s_delay_alu instid0(VALU_DEP_1) | instskip(NEXT) | instid1(VALU_DEP_1)
	v_add_f32_e32 v44, v50, v44
	v_mul_f32_e32 v44, 0.5, v44
	s_delay_alu instid0(VALU_DEP_1)
	v_cmp_lt_f32_e32 vcc_lo, v44, v43
	v_cndmask_b32_e32 v46, v47, v45, vcc_lo
; %bb.51:                               ;   in Loop: Header=BB84_6 Depth=1
	s_or_b32 exec_lo, exec_lo, s5
	s_delay_alu instid0(VALU_DEP_1)
	v_lshlrev_b32_e32 v43, 2, v46
	v_perm_b32 v44, v42, v46, 0x7060004
	s_mov_b32 s5, exec_lo
	ds_load_b32 v43, v43 offset:8448
	s_waitcnt lgkmcnt(0)
	v_xor_b32_e32 v43, v43, v40
	s_delay_alu instid0(VALU_DEP_1)
	v_cmpx_gt_i32_e32 0, v43
	s_cbranch_execz .LBB84_57
; %bb.52:                               ;   in Loop: Header=BB84_6 Depth=1
	v_lshlrev_b16 v42, 8, v46
	v_and_b32_e32 v43, 0xff, v44
	s_mov_b32 s6, exec_lo
	v_cmpx_nlt_f32_e32 0, v40
	s_xor_b32 s6, exec_lo, s6
; %bb.53:                               ;   in Loop: Header=BB84_6 Depth=1
	s_delay_alu instid0(VALU_DEP_2) | instskip(NEXT) | instid1(VALU_DEP_1)
	v_or_b32_e32 v42, v42, v43
                                        ; implicit-def: $vgpr43
	v_add_nc_u16 v42, v42, 0xff00
	s_delay_alu instid0(VALU_DEP_1) | instskip(NEXT) | instid1(VALU_DEP_1)
	v_and_b32_e32 v42, 0xffff, v42
	v_and_or_b32 v44, 0xffff0000, v44, v42
                                        ; implicit-def: $vgpr42
; %bb.54:                               ;   in Loop: Header=BB84_6 Depth=1
	s_and_not1_saveexec_b32 s6, s6
; %bb.55:                               ;   in Loop: Header=BB84_6 Depth=1
	v_or_b32_e32 v42, v42, v43
	s_delay_alu instid0(VALU_DEP_1) | instskip(NEXT) | instid1(VALU_DEP_1)
	v_add_nc_u16 v42, v42, 0x100
	v_and_b32_e32 v42, 0xffff, v42
	s_delay_alu instid0(VALU_DEP_1)
	v_and_or_b32 v44, 0xffff0000, v44, v42
; %bb.56:                               ;   in Loop: Header=BB84_6 Depth=1
	s_or_b32 exec_lo, exec_lo, s6
.LBB84_57:                              ;   in Loop: Header=BB84_6 Depth=1
	s_delay_alu instid0(SALU_CYCLE_1) | instskip(NEXT) | instid1(VALU_DEP_1)
	s_or_b32 exec_lo, exec_lo, s5
	v_lshrrev_b32_e32 v42, 14, v44
	s_mov_b32 s7, exec_lo
	v_mov_b32_e32 v50, -16
	s_delay_alu instid0(VALU_DEP_2) | instskip(SKIP_3) | instid1(VALU_DEP_1)
	v_and_b32_e32 v42, 0x3fc, v42
	ds_load_b32 v43, v42 offset:8448
	v_cvt_f32_f16_e32 v42, v7
	s_waitcnt lgkmcnt(0)
	v_dual_mul_f32 v43, v43, v41 :: v_dual_mul_f32 v42, s17, v42
	s_delay_alu instid0(VALU_DEP_1) | instskip(NEXT) | instid1(VALU_DEP_2)
	v_mul_f32_e32 v43, s14, v43
	v_fma_mix_f32 v45, v1, s16, v42 op_sel_hi:[1,0,0]
	s_delay_alu instid0(VALU_DEP_1) | instskip(NEXT) | instid1(VALU_DEP_1)
	v_cndmask_b32_e64 v42, v42, v45, s0
	v_mul_f32_e32 v45, v42, v42
	s_delay_alu instid0(VALU_DEP_1) | instskip(NEXT) | instid1(VALU_DEP_1)
	v_fmac_f32_e32 v43, v23, v45
	v_mul_f32_e32 v45, v33, v43
	s_delay_alu instid0(VALU_DEP_1) | instskip(SKIP_3) | instid1(VALU_DEP_2)
	v_cmp_lt_f32_e32 vcc_lo, v9, v45
	v_cndmask_b32_e32 v54, -1.0, v9, vcc_lo
	v_cndmask_b32_e64 v51, 63, 0xbf, vcc_lo
	v_cndmask_b32_e64 v47, 0, 0x7f, vcc_lo
	v_lshlrev_b32_e32 v46, 2, v51
	ds_load_b32 v53, v46 offset:8448
	v_or_b32_e32 v46, 0x2100, v46
	s_waitcnt lgkmcnt(0)
	v_cmp_lt_f32_e64 s5, v53, v45
	s_delay_alu instid0(VALU_DEP_1) | instskip(SKIP_2) | instid1(VALU_DEP_3)
	v_cndmask_b32_e64 v48, 0xffffffe0, 32, s5
	v_cndmask_b32_e64 v52, v47, v51, s5
	;; [unrolled: 1-line block ×3, first 2 shown]
	v_lshl_add_u32 v49, v48, 2, v46
	v_add_nc_u32_e32 v48, v51, v48
	ds_load_b32 v46, v49
	v_mov_b32_e32 v47, v48
	s_waitcnt lgkmcnt(0)
	v_cmpx_lt_f32_e32 v46, v45
; %bb.58:                               ;   in Loop: Header=BB84_6 Depth=1
	v_cndmask_b32_e64 v47, v9, 1.0, vcc_lo
	v_cndmask_b32_e32 v50, 0x7f, v34, vcc_lo
	v_mov_b32_e32 v52, v48
	v_mov_b32_e32 v54, v46
	s_delay_alu instid0(VALU_DEP_4) | instskip(NEXT) | instid1(VALU_DEP_4)
	v_cndmask_b32_e64 v53, v53, v47, s5
	v_cndmask_b32_e64 v47, v51, v50, s5
	v_mov_b32_e32 v50, 16
	s_delay_alu instid0(VALU_DEP_3)
	v_mov_b32_e32 v46, v53
; %bb.59:                               ;   in Loop: Header=BB84_6 Depth=1
	s_or_b32 exec_lo, exec_lo, s7
	s_delay_alu instid0(VALU_DEP_2)
	v_lshl_add_u32 v49, v50, 2, v49
	v_add_nc_u32_e32 v56, v50, v48
	s_mov_b32 s6, exec_lo
	ds_load_b32 v55, v49
	s_waitcnt lgkmcnt(0)
	v_cmp_lt_f32_e32 vcc_lo, v55, v45
	v_cndmask_b32_e64 v53, -8, 8, vcc_lo
	v_cndmask_b32_e32 v54, v54, v55, vcc_lo
	s_delay_alu instid0(VALU_DEP_2)
	v_lshl_add_u32 v51, v53, 2, v49
	v_dual_mov_b32 v53, -4 :: v_dual_add_nc_u32 v48, v53, v56
	v_cndmask_b32_e32 v52, v52, v56, vcc_lo
	ds_load_b32 v49, v51
	v_mov_b32_e32 v50, v48
	s_waitcnt lgkmcnt(0)
	v_cmpx_lt_f32_e32 v49, v45
; %bb.60:                               ;   in Loop: Header=BB84_6 Depth=1
	v_dual_cndmask_b32 v46, v55, v46 :: v_dual_mov_b32 v53, 4
	v_cndmask_b32_e32 v50, v56, v47, vcc_lo
	v_mov_b32_e32 v52, v48
	s_delay_alu instid0(VALU_DEP_3)
	v_dual_mov_b32 v54, v49 :: v_dual_mov_b32 v49, v46
; %bb.61:                               ;   in Loop: Header=BB84_6 Depth=1
	s_or_b32 exec_lo, exec_lo, s6
	v_lshl_add_u32 v46, v53, 2, v51
	v_add_nc_u32_e32 v57, v53, v48
	s_mov_b32 s6, exec_lo
	ds_load_b32 v56, v46
	s_waitcnt lgkmcnt(0)
	v_cmp_lt_f32_e32 vcc_lo, v56, v45
	v_cndmask_b32_e64 v51, -2, 2, vcc_lo
	s_delay_alu instid0(VALU_DEP_1)
	v_lshl_add_u32 v46, v51, 2, v46
	v_add_nc_u32_e32 v53, v51, v57
	v_dual_cndmask_b32 v51, v52, v57 :: v_dual_cndmask_b32 v52, v54, v56
	v_mov_b32_e32 v55, -1
	ds_load_b32 v47, v46
	v_mov_b32_e32 v48, v53
	s_waitcnt lgkmcnt(0)
	v_cmpx_lt_f32_e32 v47, v45
; %bb.62:                               ;   in Loop: Header=BB84_6 Depth=1
	v_dual_cndmask_b32 v49, v56, v49 :: v_dual_cndmask_b32 v48, v57, v50
	v_dual_mov_b32 v55, 1 :: v_dual_mov_b32 v52, v47
	v_mov_b32_e32 v51, v53
	s_delay_alu instid0(VALU_DEP_3)
	v_mov_b32_e32 v47, v49
; %bb.63:                               ;   in Loop: Header=BB84_6 Depth=1
	s_or_b32 exec_lo, exec_lo, s6
	s_delay_alu instid0(VALU_DEP_3)
	v_lshl_add_u32 v46, v55, 2, v46
	v_add_nc_u32_e32 v49, v55, v53
	s_mov_b32 s5, exec_lo
	ds_load_b32 v50, v46
                                        ; implicit-def: $vgpr46
	s_waitcnt lgkmcnt(0)
	v_cmpx_nlt_f32_e32 v50, v45
	s_xor_b32 s5, exec_lo, s5
; %bb.64:                               ;   in Loop: Header=BB84_6 Depth=1
	v_cmp_eq_u32_e32 vcc_lo, 0, v51
                                        ; implicit-def: $vgpr48
                                        ; implicit-def: $vgpr47
	v_cndmask_b32_e32 v46, v52, v8, vcc_lo
	s_delay_alu instid0(VALU_DEP_1) | instskip(NEXT) | instid1(VALU_DEP_1)
	v_add_f32_e32 v46, v50, v46
                                        ; implicit-def: $vgpr50
	v_mul_f32_e32 v46, 0.5, v46
	s_delay_alu instid0(VALU_DEP_1)
	v_cmp_gt_f32_e32 vcc_lo, v46, v45
                                        ; implicit-def: $vgpr45
	v_cndmask_b32_e32 v46, v49, v51, vcc_lo
                                        ; implicit-def: $vgpr49
; %bb.65:                               ;   in Loop: Header=BB84_6 Depth=1
	s_and_not1_saveexec_b32 s5, s5
; %bb.66:                               ;   in Loop: Header=BB84_6 Depth=1
	v_cmp_eq_u32_e32 vcc_lo, 0xff, v48
	v_cndmask_b32_e32 v46, v47, v39, vcc_lo
	s_delay_alu instid0(VALU_DEP_1) | instskip(NEXT) | instid1(VALU_DEP_1)
	v_add_f32_e32 v46, v50, v46
	v_mul_f32_e32 v46, 0.5, v46
	s_delay_alu instid0(VALU_DEP_1)
	v_cmp_lt_f32_e32 vcc_lo, v46, v45
	v_cndmask_b32_e32 v46, v49, v48, vcc_lo
; %bb.67:                               ;   in Loop: Header=BB84_6 Depth=1
	s_or_b32 exec_lo, exec_lo, s5
	s_delay_alu instid0(VALU_DEP_1)
	v_lshlrev_b32_e32 v45, 2, v46
	v_perm_b32 v44, v44, v46, 0x7000504
	s_mov_b32 s5, exec_lo
	ds_load_b32 v45, v45 offset:8448
	s_waitcnt lgkmcnt(0)
	v_xor_b32_e32 v45, v45, v43
	s_delay_alu instid0(VALU_DEP_1)
	v_cmpx_gt_i32_e32 0, v45
	s_cbranch_execz .LBB84_73
; %bb.68:                               ;   in Loop: Header=BB84_6 Depth=1
	s_mov_b32 s6, exec_lo
	v_cmpx_nlt_f32_e32 0, v43
	s_xor_b32 s6, exec_lo, s6
; %bb.69:                               ;   in Loop: Header=BB84_6 Depth=1
	v_add_nc_u16 v45, v46, -1
                                        ; implicit-def: $vgpr46
	s_delay_alu instid0(VALU_DEP_1)
	v_perm_b32 v44, v44, v45, 0x7000504
; %bb.70:                               ;   in Loop: Header=BB84_6 Depth=1
	s_and_not1_saveexec_b32 s6, s6
; %bb.71:                               ;   in Loop: Header=BB84_6 Depth=1
	v_add_nc_u16 v45, v46, 1
	s_delay_alu instid0(VALU_DEP_1)
	v_perm_b32 v44, v44, v45, 0x7000504
; %bb.72:                               ;   in Loop: Header=BB84_6 Depth=1
	s_or_b32 exec_lo, exec_lo, s6
.LBB84_73:                              ;   in Loop: Header=BB84_6 Depth=1
	s_delay_alu instid0(SALU_CYCLE_1) | instskip(NEXT) | instid1(VALU_DEP_1)
	s_or_b32 exec_lo, exec_lo, s5
	v_lshrrev_b32_e32 v45, 22, v44
	v_lshrrev_b32_e32 v7, 16, v7
	s_mov_b32 s7, exec_lo
	s_delay_alu instid0(VALU_DEP_2) | instskip(NEXT) | instid1(VALU_DEP_2)
	v_dual_mov_b32 v50, -16 :: v_dual_and_b32 v45, 0x3fc, v45
	v_cvt_f32_f16_e32 v7, v7
	ds_load_b32 v45, v45 offset:8448
	v_mul_f32_e32 v7, s17, v7
	s_delay_alu instid0(VALU_DEP_1) | instskip(NEXT) | instid1(VALU_DEP_1)
	v_fma_mix_f32 v46, v35, s16, v7 op_sel_hi:[1,0,0]
	v_cndmask_b32_e64 v7, v7, v46, s0
	s_waitcnt lgkmcnt(0)
	v_mul_f32_e32 v41, v45, v41
	s_delay_alu instid0(VALU_DEP_2) | instskip(NEXT) | instid1(VALU_DEP_2)
	v_mul_f32_e32 v45, v7, v7
	v_mul_f32_e32 v41, s14, v41
	s_delay_alu instid0(VALU_DEP_1) | instskip(NEXT) | instid1(VALU_DEP_1)
	v_fmac_f32_e32 v41, v23, v45
	v_mul_f32_e32 v45, v33, v41
	s_delay_alu instid0(VALU_DEP_1) | instskip(SKIP_3) | instid1(VALU_DEP_3)
	v_cmp_lt_f32_e32 vcc_lo, v9, v45
	v_cndmask_b32_e64 v52, 63, 0xbf, vcc_lo
	v_cndmask_b32_e64 v48, 0, 0x7f, vcc_lo
	v_cndmask_b32_e32 v54, -1.0, v9, vcc_lo
	v_lshlrev_b32_e32 v46, 2, v52
	ds_load_b32 v53, v46 offset:8448
	v_or_b32_e32 v46, 0x2100, v46
	s_waitcnt lgkmcnt(0)
	v_cmp_lt_f32_e64 s5, v53, v45
	s_delay_alu instid0(VALU_DEP_1) | instskip(SKIP_2) | instid1(VALU_DEP_3)
	v_cndmask_b32_e64 v49, 0xffffffe0, 32, s5
	v_cndmask_b32_e64 v51, v48, v52, s5
	;; [unrolled: 1-line block ×3, first 2 shown]
	v_lshl_add_u32 v47, v49, 2, v46
	v_add_nc_u32_e32 v49, v52, v49
	ds_load_b32 v46, v47
	v_mov_b32_e32 v48, v49
	s_waitcnt lgkmcnt(0)
	v_cmpx_lt_f32_e32 v46, v45
; %bb.74:                               ;   in Loop: Header=BB84_6 Depth=1
	v_cndmask_b32_e64 v9, v9, 1.0, vcc_lo
	v_dual_cndmask_b32 v48, 0x7f, v34 :: v_dual_mov_b32 v51, v49
	v_mov_b32_e32 v50, 16
	v_mov_b32_e32 v54, v46
	s_delay_alu instid0(VALU_DEP_4) | instskip(NEXT) | instid1(VALU_DEP_4)
	v_cndmask_b32_e64 v9, v53, v9, s5
	v_cndmask_b32_e64 v48, v52, v48, s5
	s_delay_alu instid0(VALU_DEP_2)
	v_mov_b32_e32 v46, v9
; %bb.75:                               ;   in Loop: Header=BB84_6 Depth=1
	s_or_b32 exec_lo, exec_lo, s7
	v_lshl_add_u32 v9, v50, 2, v47
	v_add_nc_u32_e32 v56, v50, v49
	s_mov_b32 s6, exec_lo
	ds_load_b32 v55, v9
	s_waitcnt lgkmcnt(0)
	v_cmp_lt_f32_e32 vcc_lo, v55, v45
	v_cndmask_b32_e64 v52, -8, 8, vcc_lo
	v_dual_cndmask_b32 v54, v54, v55 :: v_dual_cndmask_b32 v53, v51, v56
	s_delay_alu instid0(VALU_DEP_2)
	v_lshl_add_u32 v9, v52, 2, v9
	v_add_nc_u32_e32 v50, v52, v56
	v_mov_b32_e32 v52, -4
	ds_load_b32 v47, v9
	v_mov_b32_e32 v49, v50
	s_waitcnt lgkmcnt(0)
	v_cmpx_lt_f32_e32 v47, v45
; %bb.76:                               ;   in Loop: Header=BB84_6 Depth=1
	v_dual_cndmask_b32 v46, v55, v46 :: v_dual_cndmask_b32 v49, v56, v48
	v_dual_mov_b32 v52, 4 :: v_dual_mov_b32 v53, v50
	s_delay_alu instid0(VALU_DEP_2)
	v_dual_mov_b32 v54, v47 :: v_dual_mov_b32 v47, v46
; %bb.77:                               ;   in Loop: Header=BB84_6 Depth=1
	s_or_b32 exec_lo, exec_lo, s6
	s_delay_alu instid0(VALU_DEP_2)
	v_lshl_add_u32 v9, v52, 2, v9
	s_mov_b32 s6, exec_lo
	v_mov_b32_e32 v55, -1
	ds_load_b32 v56, v9
	s_waitcnt lgkmcnt(0)
	v_cmp_lt_f32_e32 vcc_lo, v56, v45
	v_dual_cndmask_b32 v50, v54, v56 :: v_dual_add_nc_u32 v57, v52, v50
	v_cndmask_b32_e64 v46, -2, 2, vcc_lo
	s_delay_alu instid0(VALU_DEP_2) | instskip(NEXT) | instid1(VALU_DEP_2)
	v_cndmask_b32_e32 v48, v53, v57, vcc_lo
	v_lshl_add_u32 v51, v46, 2, v9
	v_add_nc_u32_e32 v52, v46, v57
	ds_load_b32 v9, v51
	v_mov_b32_e32 v46, v52
	s_waitcnt lgkmcnt(0)
	v_cmpx_lt_f32_e32 v9, v45
; %bb.78:                               ;   in Loop: Header=BB84_6 Depth=1
	v_dual_cndmask_b32 v47, v56, v47 :: v_dual_cndmask_b32 v46, v57, v49
	v_dual_mov_b32 v55, 1 :: v_dual_mov_b32 v48, v52
	s_delay_alu instid0(VALU_DEP_2)
	v_dual_mov_b32 v50, v9 :: v_dual_mov_b32 v9, v47
; %bb.79:                               ;   in Loop: Header=BB84_6 Depth=1
	s_or_b32 exec_lo, exec_lo, s6
	s_delay_alu instid0(VALU_DEP_2)
	v_lshl_add_u32 v47, v55, 2, v51
	v_add_nc_u32_e32 v49, v55, v52
	s_mov_b32 s5, exec_lo
	ds_load_b32 v51, v47
                                        ; implicit-def: $vgpr47
	s_waitcnt lgkmcnt(0)
	v_cmpx_nlt_f32_e32 v51, v45
	s_xor_b32 s5, exec_lo, s5
; %bb.80:                               ;   in Loop: Header=BB84_6 Depth=1
	v_cmp_eq_u32_e32 vcc_lo, 0, v48
                                        ; implicit-def: $vgpr46
                                        ; implicit-def: $vgpr9
                                        ; implicit-def: $vgpr39
	v_cndmask_b32_e32 v8, v50, v8, vcc_lo
	s_delay_alu instid0(VALU_DEP_1) | instskip(NEXT) | instid1(VALU_DEP_1)
	v_add_f32_e32 v8, v51, v8
                                        ; implicit-def: $vgpr51
	v_mul_f32_e32 v8, 0.5, v8
	s_delay_alu instid0(VALU_DEP_1)
	v_cmp_gt_f32_e32 vcc_lo, v8, v45
                                        ; implicit-def: $vgpr45
	v_cndmask_b32_e32 v47, v49, v48, vcc_lo
                                        ; implicit-def: $vgpr49
; %bb.81:                               ;   in Loop: Header=BB84_6 Depth=1
	s_and_not1_saveexec_b32 s5, s5
; %bb.82:                               ;   in Loop: Header=BB84_6 Depth=1
	v_cmp_eq_u32_e32 vcc_lo, 0xff, v46
	v_cndmask_b32_e32 v8, v9, v39, vcc_lo
	s_delay_alu instid0(VALU_DEP_1) | instskip(NEXT) | instid1(VALU_DEP_1)
	v_add_f32_e32 v8, v51, v8
	v_mul_f32_e32 v8, 0.5, v8
	s_delay_alu instid0(VALU_DEP_1)
	v_cmp_lt_f32_e32 vcc_lo, v8, v45
	v_cndmask_b32_e32 v47, v49, v46, vcc_lo
; %bb.83:                               ;   in Loop: Header=BB84_6 Depth=1
	s_or_b32 exec_lo, exec_lo, s5
	s_delay_alu instid0(VALU_DEP_1)
	v_lshlrev_b32_e32 v8, 2, v47
	s_mov_b32 s5, exec_lo
	ds_load_b32 v8, v8 offset:8448
	s_waitcnt lgkmcnt(0)
	v_xor_b32_e32 v9, v8, v41
	v_perm_b32 v8, v44, v47, 0x60504
	s_delay_alu instid0(VALU_DEP_2)
	v_cmpx_gt_i32_e32 0, v9
	s_cbranch_execz .LBB84_89
; %bb.84:                               ;   in Loop: Header=BB84_6 Depth=1
	s_delay_alu instid0(VALU_DEP_2) | instskip(SKIP_2) | instid1(VALU_DEP_2)
	v_lshrrev_b32_e32 v39, 16, v8
	v_lshlrev_b16 v9, 8, v47
	s_mov_b32 s6, exec_lo
	v_and_b32_e32 v39, 0xff, v39
	v_cmpx_nlt_f32_e32 0, v41
	s_xor_b32 s6, exec_lo, s6
; %bb.85:                               ;   in Loop: Header=BB84_6 Depth=1
	s_delay_alu instid0(VALU_DEP_2) | instskip(NEXT) | instid1(VALU_DEP_1)
	v_or_b32_e32 v9, v9, v39
                                        ; implicit-def: $vgpr39
	v_add_nc_u16 v9, v9, 0xff00
	s_delay_alu instid0(VALU_DEP_1) | instskip(NEXT) | instid1(VALU_DEP_1)
	v_lshlrev_b32_e32 v9, 16, v9
	v_and_or_b32 v8, 0xffff, v8, v9
                                        ; implicit-def: $vgpr9
; %bb.86:                               ;   in Loop: Header=BB84_6 Depth=1
	s_and_not1_saveexec_b32 s6, s6
; %bb.87:                               ;   in Loop: Header=BB84_6 Depth=1
	v_or_b32_e32 v9, v9, v39
	s_delay_alu instid0(VALU_DEP_1) | instskip(NEXT) | instid1(VALU_DEP_1)
	v_add_nc_u16 v9, v9, 0x100
	v_lshlrev_b32_e32 v9, 16, v9
	s_delay_alu instid0(VALU_DEP_1)
	v_and_or_b32 v8, 0xffff, v8, v9
; %bb.88:                               ;   in Loop: Header=BB84_6 Depth=1
	s_or_b32 exec_lo, exec_lo, s6
.LBB84_89:                              ;   in Loop: Header=BB84_6 Depth=1
	s_delay_alu instid0(SALU_CYCLE_1)
	s_or_b32 exec_lo, exec_lo, s5
	v_dual_mul_f32 v9, 0x4f800000, v41 :: v_dual_mul_f32 v44, 0x4f800000, v40
	v_cmp_gt_f32_e64 s6, 0xf800000, v40
	v_cmp_gt_f32_e32 vcc_lo, 0xf800000, v41
	v_cmp_gt_f32_e64 s5, 0xf800000, v43
	v_cmp_gt_f32_e64 s7, 0xf800000, v38
	v_cvt_f32_f16_e32 v0, v0
	v_cndmask_b32_e64 v40, v40, v44, s6
	v_cvt_f32_f16_e32 v1, v1
	v_cvt_f32_f16_e32 v36, v36
	;; [unrolled: 1-line block ×3, first 2 shown]
	s_delay_alu instid0(VALU_DEP_4) | instskip(SKIP_2) | instid1(VALU_DEP_1)
	v_sqrt_f32_e32 v44, v40
	s_waitcnt_depctr 0xfff
	v_dual_cndmask_b32 v9, v41, v9 :: v_dual_add_nc_u32 v50, -1, v44
	v_sqrt_f32_e32 v41, v9
	s_waitcnt_depctr 0xfff
	v_dual_mul_f32 v39, 0x4f800000, v43 :: v_dual_add_nc_u32 v46, -1, v41
	s_delay_alu instid0(VALU_DEP_1) | instskip(SKIP_1) | instid1(VALU_DEP_3)
	v_cndmask_b32_e64 v39, v43, v39, s5
	v_add_nc_u32_e32 v47, 1, v41
	v_fma_f32 v53, -v46, v41, v9
	s_delay_alu instid0(VALU_DEP_3) | instskip(SKIP_1) | instid1(VALU_DEP_3)
	v_sqrt_f32_e32 v43, v39
	v_mul_f32_e32 v45, 0x4f800000, v38
	v_fma_f32 v55, -v47, v41, v9
	s_delay_alu instid0(VALU_DEP_3) | instskip(NEXT) | instid1(VALU_DEP_1)
	v_cmp_ge_f32_e64 s8, 0, v53
	v_cndmask_b32_e64 v41, v41, v46, s8
	s_waitcnt_depctr 0xfff
	v_add_nc_u32_e32 v48, -1, v43
	v_cndmask_b32_e64 v38, v38, v45, s7
	v_cmp_lt_f32_e64 s8, 0, v55
	v_fma_f32 v46, -v50, v44, v40
	s_delay_alu instid0(VALU_DEP_4) | instskip(NEXT) | instid1(VALU_DEP_4)
	v_fma_f32 v56, -v48, v43, v39
	v_sqrt_f32_e32 v45, v38
	s_delay_alu instid0(VALU_DEP_3) | instskip(SKIP_1) | instid1(VALU_DEP_3)
	v_cndmask_b32_e64 v41, v41, v47, s8
	v_add_nc_u32_e32 v49, 1, v43
	v_cmp_ge_f32_e64 s8, 0, v56
	s_delay_alu instid0(VALU_DEP_2) | instskip(NEXT) | instid1(VALU_DEP_2)
	v_fma_f32 v57, -v49, v43, v39
	v_cndmask_b32_e64 v43, v43, v48, s8
	v_cmp_ge_f32_e64 s8, 0, v46
	v_mul_f32_e32 v46, 0x37800000, v41
	s_delay_alu instid0(TRANS32_DEP_1) | instid1(VALU_DEP_1)
	v_dual_cndmask_b32 v41, v41, v46 :: v_dual_add_nc_u32 v52, -1, v45
	s_delay_alu instid0(VALU_DEP_1) | instskip(NEXT) | instid1(VALU_DEP_1)
	v_fma_f32 v58, -v52, v45, v38
	v_cmp_ge_f32_e32 vcc_lo, 0, v58
	v_add_nc_u32_e32 v54, 1, v45
	s_delay_alu instid0(VALU_DEP_1) | instskip(SKIP_3) | instid1(VALU_DEP_4)
	v_fma_f32 v47, -v54, v45, v38
	v_cndmask_b32_e32 v45, v45, v52, vcc_lo
	v_cmp_class_f32_e64 vcc_lo, v9, 0x260
	v_cndmask_b32_e32 v9, v41, v9, vcc_lo
	v_cmp_lt_f32_e32 vcc_lo, 0, v47
	s_delay_alu instid0(VALU_DEP_4) | instskip(SKIP_2) | instid1(VALU_DEP_2)
	v_cndmask_b32_e32 v45, v45, v54, vcc_lo
	v_add_nc_u32_e32 v51, 1, v44
	v_cmp_class_f32_e64 vcc_lo, v39, 0x260
	v_fma_f32 v53, -v51, v44, v40
	v_cndmask_b32_e64 v44, v44, v50, s8
	v_cmp_lt_f32_e64 s8, 0, v57
	s_delay_alu instid0(VALU_DEP_1) | instskip(NEXT) | instid1(VALU_DEP_4)
	v_cndmask_b32_e64 v43, v43, v49, s8
	v_cmp_lt_f32_e64 s8, 0, v53
	s_delay_alu instid0(VALU_DEP_2) | instskip(NEXT) | instid1(VALU_DEP_2)
	v_mul_f32_e32 v46, 0x37800000, v43
	v_cndmask_b32_e64 v44, v44, v51, s8
	s_delay_alu instid0(VALU_DEP_2) | instskip(NEXT) | instid1(VALU_DEP_2)
	v_cndmask_b32_e64 v43, v43, v46, s5
	v_mul_f32_e32 v41, 0x37800000, v44
	s_delay_alu instid0(VALU_DEP_1) | instskip(NEXT) | instid1(VALU_DEP_3)
	v_cndmask_b32_e64 v41, v44, v41, s6
	v_dual_cndmask_b32 v39, v43, v39 :: v_dual_mul_f32 v44, 0x37800000, v45
	v_cmp_class_f32_e64 vcc_lo, v40, 0x260
	s_delay_alu instid0(VALU_DEP_2) | instskip(NEXT) | instid1(VALU_DEP_4)
	v_cndmask_b32_e64 v44, v45, v44, s7
	v_cndmask_b32_e32 v40, v41, v40, vcc_lo
	v_cmp_class_f32_e64 vcc_lo, v38, 0x260
	s_delay_alu instid0(VALU_DEP_2) | instskip(NEXT) | instid1(VALU_DEP_4)
	v_dual_add_f32 v39, s15, v39 :: v_dual_add_f32 v40, s15, v40
	v_dual_cndmask_b32 v38, v44, v38 :: v_dual_add_f32 v9, s15, v9
	s_delay_alu instid0(VALU_DEP_2) | instskip(NEXT) | instid1(VALU_DEP_3)
	v_div_scale_f32 v45, null, v39, v39, v42
	v_div_scale_f32 v44, null, v40, v40, v6
	s_delay_alu instid0(VALU_DEP_3) | instskip(NEXT) | instid1(VALU_DEP_4)
	v_add_f32_e32 v38, s15, v38
	v_div_scale_f32 v43, null, v9, v9, v7
	s_delay_alu instid0(VALU_DEP_4) | instskip(NEXT) | instid1(VALU_DEP_3)
	v_rcp_f32_e32 v46, v45
	v_rcp_f32_e32 v48, v44
	s_delay_alu instid0(VALU_DEP_2) | instskip(NEXT) | instid1(VALU_DEP_2)
	v_div_scale_f32 v49, null, v38, v38, v37
	v_rcp_f32_e32 v41, v43
	s_delay_alu instid0(VALU_DEP_1) | instskip(SKIP_1) | instid1(TRANS32_DEP_3)
	v_rcp_f32_e32 v51, v49
	v_fma_f32 v50, -v45, v46, 1.0
	v_fma_f32 v52, -v44, v48, 1.0
	s_waitcnt_depctr 0xfff
	v_fma_f32 v47, -v43, v41, 1.0
	v_fmac_f32_e32 v46, v50, v46
	v_div_scale_f32 v50, s5, v42, v39, v42
	v_fma_f32 v54, -v49, v51, 1.0
	s_delay_alu instid0(VALU_DEP_4) | instskip(SKIP_1) | instid1(VALU_DEP_4)
	v_fmac_f32_e32 v41, v47, v41
	v_div_scale_f32 v47, vcc_lo, v7, v9, v7
	v_mul_f32_e32 v56, v50, v46
	v_fmac_f32_e32 v48, v52, v48
	v_div_scale_f32 v52, s6, v6, v40, v6
	s_delay_alu instid0(VALU_DEP_4) | instskip(SKIP_2) | instid1(VALU_DEP_3)
	v_mul_f32_e32 v53, v47, v41
	v_fmac_f32_e32 v51, v54, v51
	v_div_scale_f32 v54, s7, v37, v38, v37
	v_fma_f32 v55, -v43, v53, v47
	s_delay_alu instid0(VALU_DEP_2) | instskip(NEXT) | instid1(VALU_DEP_2)
	v_mul_f32_e32 v59, v54, v51
	v_fmac_f32_e32 v53, v55, v41
	v_fma_f32 v55, -v45, v56, v50
	v_mul_f32_e32 v57, v52, v48
	s_delay_alu instid0(VALU_DEP_3) | instskip(NEXT) | instid1(VALU_DEP_3)
	v_fma_f32 v43, -v43, v53, v47
	v_fmac_f32_e32 v56, v55, v46
	s_delay_alu instid0(VALU_DEP_3) | instskip(SKIP_1) | instid1(VALU_DEP_4)
	v_fma_f32 v58, -v44, v57, v52
	v_fma_f32 v47, -v49, v59, v54
	v_div_fmas_f32 v41, v43, v41, v53
	s_delay_alu instid0(VALU_DEP_4) | instskip(NEXT) | instid1(VALU_DEP_4)
	v_fma_f32 v43, -v45, v56, v50
	v_fmac_f32_e32 v57, v58, v48
	s_delay_alu instid0(VALU_DEP_4)
	v_fmac_f32_e32 v59, v47, v51
	s_mov_b32 vcc_lo, s5
	v_div_fixup_f32 v7, v41, v9, v7
	v_div_fmas_f32 v43, v43, v46, v56
	v_fma_f32 v44, -v44, v57, v52
	v_fma_f32 v45, -v49, v59, v54
	s_mov_b32 vcc_lo, s6
	s_delay_alu instid0(VALU_DEP_3) | instskip(NEXT) | instid1(VALU_DEP_3)
	v_div_fixup_f32 v39, v43, v39, v42
	v_div_fmas_f32 v44, v44, v48, v57
	s_mov_b32 vcc_lo, s7
	v_div_fmas_f32 v45, v45, v51, v59
	s_delay_alu instid0(VALU_DEP_3) | instskip(NEXT) | instid1(VALU_DEP_3)
	v_fma_mixlo_f16 v1, -v39, s19, v1
	v_div_fixup_f32 v6, v44, v40, v6
	s_delay_alu instid0(VALU_DEP_3) | instskip(NEXT) | instid1(VALU_DEP_3)
	v_div_fixup_f32 v37, v45, v38, v37
	v_fma_mixhi_f16 v1, -v7, s19, v35
	s_delay_alu instid0(VALU_DEP_2) | instskip(NEXT) | instid1(VALU_DEP_1)
	v_fma_mixlo_f16 v0, -v37, s19, v0
	v_fma_mixhi_f16 v0, -v6, s19, v36
	ds_store_b64 v21, v[0:1]
	; wave barrier
	ds_load_u16 v0, v17
	ds_load_u16 v36, v19
	;; [unrolled: 1-line block ×4, first 2 shown]
	s_and_saveexec_b32 s5, s1
	s_delay_alu instid0(SALU_CYCLE_1)
	s_xor_b32 s5, exec_lo, s5
	s_cbranch_execnz .LBB84_104
; %bb.90:                               ;   in Loop: Header=BB84_6 Depth=1
	s_or_b32 exec_lo, exec_lo, s5
	s_and_saveexec_b32 s5, s2
	s_cbranch_execnz .LBB84_105
.LBB84_91:                              ;   in Loop: Header=BB84_6 Depth=1
	s_or_b32 exec_lo, exec_lo, s5
	s_and_saveexec_b32 s5, s3
	s_cbranch_execnz .LBB84_106
.LBB84_92:                              ;   in Loop: Header=BB84_6 Depth=1
	s_or_b32 exec_lo, exec_lo, s5
	s_and_saveexec_b32 s5, s4
	s_cbranch_execz .LBB84_94
.LBB84_93:                              ;   in Loop: Header=BB84_6 Depth=1
	s_waitcnt lgkmcnt(0)
	global_store_b16 v[4:5], v35, off offset:192
.LBB84_94:                              ;   in Loop: Header=BB84_6 Depth=1
	s_or_b32 exec_lo, exec_lo, s5
	s_waitcnt lgkmcnt(0)
	s_waitcnt_vscnt null, 0x0
	s_barrier
	buffer_gl0_inv
	ds_store_b32 v22, v8
	; wave barrier
	ds_load_u8 v6, v18
	ds_load_u8 v5, v29
	;; [unrolled: 1-line block ×3, first 2 shown]
	s_and_saveexec_b32 s5, s1
	s_cbranch_execnz .LBB84_107
; %bb.95:                               ;   in Loop: Header=BB84_6 Depth=1
	s_or_b32 exec_lo, exec_lo, s5
	s_and_saveexec_b32 s1, s2
	s_cbranch_execnz .LBB84_108
.LBB84_96:                              ;   in Loop: Header=BB84_6 Depth=1
	s_or_b32 exec_lo, exec_lo, s1
	s_and_saveexec_b32 s1, s3
	s_cbranch_execnz .LBB84_109
.LBB84_97:                              ;   in Loop: Header=BB84_6 Depth=1
	s_or_b32 exec_lo, exec_lo, s1
	s_and_saveexec_b32 s1, s4
	s_cbranch_execz .LBB84_4
	s_branch .LBB84_110
.LBB84_98:                              ;   in Loop: Header=BB84_6 Depth=1
	global_load_u8 v5, v[2:3], off
	v_mov_b32_e32 v4, 0x80
	v_mov_b32_e32 v8, 0x80
	s_or_b32 exec_lo, exec_lo, s5
	s_delay_alu instid0(VALU_DEP_2)
	v_mov_b32_e32 v9, v4
	s_and_saveexec_b32 s5, s2
	s_cbranch_execz .LBB84_16
.LBB84_99:                              ;   in Loop: Header=BB84_6 Depth=1
	global_load_u8 v9, v[2:3], off offset:32
	s_or_b32 exec_lo, exec_lo, s5
	s_and_saveexec_b32 s5, s3
	s_cbranch_execz .LBB84_17
.LBB84_100:                             ;   in Loop: Header=BB84_6 Depth=1
	global_load_u8 v4, v[2:3], off offset:64
	s_or_b32 exec_lo, exec_lo, s5
	s_and_saveexec_b32 s5, s4
	s_cbranch_execnz .LBB84_18
	s_branch .LBB84_19
.LBB84_101:                             ;   in Loop: Header=BB84_6 Depth=1
	global_load_u16 v0, v[4:5], off
	s_or_b32 exec_lo, exec_lo, s5
	s_and_saveexec_b32 s5, s2
	s_cbranch_execz .LBB84_21
.LBB84_102:                             ;   in Loop: Header=BB84_6 Depth=1
	global_load_u16 v36, v[4:5], off offset:64
	s_or_b32 exec_lo, exec_lo, s5
	s_and_saveexec_b32 s5, s3
	s_cbranch_execz .LBB84_22
.LBB84_103:                             ;   in Loop: Header=BB84_6 Depth=1
	global_load_u16 v1, v[4:5], off offset:128
	s_or_b32 exec_lo, exec_lo, s5
	s_and_saveexec_b32 s5, s4
	s_cbranch_execnz .LBB84_23
	s_branch .LBB84_24
.LBB84_104:                             ;   in Loop: Header=BB84_6 Depth=1
	s_waitcnt lgkmcnt(3)
	global_store_b16 v[4:5], v0, off
	s_or_b32 exec_lo, exec_lo, s5
	s_and_saveexec_b32 s5, s2
	s_cbranch_execz .LBB84_91
.LBB84_105:                             ;   in Loop: Header=BB84_6 Depth=1
	s_waitcnt lgkmcnt(2)
	global_store_b16 v[4:5], v36, off offset:64
	s_or_b32 exec_lo, exec_lo, s5
	s_and_saveexec_b32 s5, s3
	s_cbranch_execz .LBB84_92
.LBB84_106:                             ;   in Loop: Header=BB84_6 Depth=1
	s_waitcnt lgkmcnt(1)
	global_store_b16 v[4:5], v1, off offset:128
	s_or_b32 exec_lo, exec_lo, s5
	s_and_saveexec_b32 s5, s4
	s_cbranch_execnz .LBB84_93
	s_branch .LBB84_94
.LBB84_107:                             ;   in Loop: Header=BB84_6 Depth=1
	ds_load_u8 v7, v16
	s_waitcnt lgkmcnt(0)
	global_store_b8 v[2:3], v7, off
	s_or_b32 exec_lo, exec_lo, s5
	s_and_saveexec_b32 s1, s2
	s_cbranch_execz .LBB84_96
.LBB84_108:                             ;   in Loop: Header=BB84_6 Depth=1
	s_waitcnt lgkmcnt(2)
	global_store_b8 v[2:3], v6, off offset:32
	s_or_b32 exec_lo, exec_lo, s1
	s_and_saveexec_b32 s1, s3
	s_cbranch_execz .LBB84_97
.LBB84_109:                             ;   in Loop: Header=BB84_6 Depth=1
	s_waitcnt lgkmcnt(1)
	global_store_b8 v[2:3], v5, off offset:64
	s_or_b32 exec_lo, exec_lo, s1
	s_and_saveexec_b32 s1, s4
	s_cbranch_execz .LBB84_4
.LBB84_110:                             ;   in Loop: Header=BB84_6 Depth=1
	s_waitcnt lgkmcnt(0)
	global_store_b8 v[2:3], v4, off offset:96
	s_branch .LBB84_4
.LBB84_111:
	s_endpgm
	.section	.rodata,"a",@progbits
	.p2align	6, 0x0
	.amdhsa_kernel _Z26kOptimizerStatic8bit1StateI6__halfLi2EEvPT_S2_PhPKffffffifPfS6_S6_ffi
		.amdhsa_group_segment_fixed_size 9472
		.amdhsa_private_segment_fixed_size 0
		.amdhsa_kernarg_size 360
		.amdhsa_user_sgpr_count 15
		.amdhsa_user_sgpr_dispatch_ptr 0
		.amdhsa_user_sgpr_queue_ptr 0
		.amdhsa_user_sgpr_kernarg_segment_ptr 1
		.amdhsa_user_sgpr_dispatch_id 0
		.amdhsa_user_sgpr_private_segment_size 0
		.amdhsa_wavefront_size32 1
		.amdhsa_uses_dynamic_stack 0
		.amdhsa_enable_private_segment 0
		.amdhsa_system_sgpr_workgroup_id_x 1
		.amdhsa_system_sgpr_workgroup_id_y 0
		.amdhsa_system_sgpr_workgroup_id_z 0
		.amdhsa_system_sgpr_workgroup_info 0
		.amdhsa_system_vgpr_workitem_id 0
		.amdhsa_next_free_vgpr 60
		.amdhsa_next_free_sgpr 23
		.amdhsa_reserve_vcc 1
		.amdhsa_float_round_mode_32 0
		.amdhsa_float_round_mode_16_64 0
		.amdhsa_float_denorm_mode_32 3
		.amdhsa_float_denorm_mode_16_64 3
		.amdhsa_dx10_clamp 1
		.amdhsa_ieee_mode 1
		.amdhsa_fp16_overflow 0
		.amdhsa_workgroup_processor_mode 1
		.amdhsa_memory_ordered 1
		.amdhsa_forward_progress 0
		.amdhsa_shared_vgpr_count 0
		.amdhsa_exception_fp_ieee_invalid_op 0
		.amdhsa_exception_fp_denorm_src 0
		.amdhsa_exception_fp_ieee_div_zero 0
		.amdhsa_exception_fp_ieee_overflow 0
		.amdhsa_exception_fp_ieee_underflow 0
		.amdhsa_exception_fp_ieee_inexact 0
		.amdhsa_exception_int_div_zero 0
	.end_amdhsa_kernel
	.section	.text._Z26kOptimizerStatic8bit1StateI6__halfLi2EEvPT_S2_PhPKffffffifPfS6_S6_ffi,"axG",@progbits,_Z26kOptimizerStatic8bit1StateI6__halfLi2EEvPT_S2_PhPKffffffifPfS6_S6_ffi,comdat
.Lfunc_end84:
	.size	_Z26kOptimizerStatic8bit1StateI6__halfLi2EEvPT_S2_PhPKffffffifPfS6_S6_ffi, .Lfunc_end84-_Z26kOptimizerStatic8bit1StateI6__halfLi2EEvPT_S2_PhPKffffffifPfS6_S6_ffi
                                        ; -- End function
	.section	.AMDGPU.csdata,"",@progbits
; Kernel info:
; codeLenInByte = 6000
; NumSgprs: 25
; NumVgprs: 60
; ScratchSize: 0
; MemoryBound: 0
; FloatMode: 240
; IeeeMode: 1
; LDSByteSize: 9472 bytes/workgroup (compile time only)
; SGPRBlocks: 3
; VGPRBlocks: 7
; NumSGPRsForWavesPerEU: 25
; NumVGPRsForWavesPerEU: 60
; Occupancy: 16
; WaveLimiterHint : 0
; COMPUTE_PGM_RSRC2:SCRATCH_EN: 0
; COMPUTE_PGM_RSRC2:USER_SGPR: 15
; COMPUTE_PGM_RSRC2:TRAP_HANDLER: 0
; COMPUTE_PGM_RSRC2:TGID_X_EN: 1
; COMPUTE_PGM_RSRC2:TGID_Y_EN: 0
; COMPUTE_PGM_RSRC2:TGID_Z_EN: 0
; COMPUTE_PGM_RSRC2:TIDIG_COMP_CNT: 0
	.section	.text._Z26kOptimizerStatic8bit1StateIfLi2EEvPT_S1_PhPKffffffifPfS5_S5_ffi,"axG",@progbits,_Z26kOptimizerStatic8bit1StateIfLi2EEvPT_S1_PhPKffffffifPfS5_S5_ffi,comdat
